;; amdgpu-corpus repo=ROCm/rocFFT kind=compiled arch=gfx1201 opt=O3
	.text
	.amdgcn_target "amdgcn-amd-amdhsa--gfx1201"
	.amdhsa_code_object_version 6
	.protected	fft_rtc_back_len22_factors_11_2_wgs_64_tpt_2_halfLds_sp_op_CI_CI_unitstride_sbrr_dirReg ; -- Begin function fft_rtc_back_len22_factors_11_2_wgs_64_tpt_2_halfLds_sp_op_CI_CI_unitstride_sbrr_dirReg
	.globl	fft_rtc_back_len22_factors_11_2_wgs_64_tpt_2_halfLds_sp_op_CI_CI_unitstride_sbrr_dirReg
	.p2align	8
	.type	fft_rtc_back_len22_factors_11_2_wgs_64_tpt_2_halfLds_sp_op_CI_CI_unitstride_sbrr_dirReg,@function
fft_rtc_back_len22_factors_11_2_wgs_64_tpt_2_halfLds_sp_op_CI_CI_unitstride_sbrr_dirReg: ; @fft_rtc_back_len22_factors_11_2_wgs_64_tpt_2_halfLds_sp_op_CI_CI_unitstride_sbrr_dirReg
; %bb.0:
	s_clause 0x2
	s_load_b128 s[4:7], s[0:1], 0x0
	s_load_b128 s[8:11], s[0:1], 0x58
	;; [unrolled: 1-line block ×3, first 2 shown]
	v_lshrrev_b32_e32 v10, 1, v0
	v_dual_mov_b32 v3, 0 :: v_dual_mov_b32 v12, 0
	v_mov_b32_e32 v13, 0
	s_delay_alu instid0(VALU_DEP_3) | instskip(NEXT) | instid1(VALU_DEP_3)
	v_lshl_or_b32 v5, ttmp9, 5, v10
	v_mov_b32_e32 v6, v3
	s_wait_kmcnt 0x0
	v_cmp_lt_u64_e64 s2, s[6:7], 2
	s_delay_alu instid0(VALU_DEP_1)
	s_and_b32 vcc_lo, exec_lo, s2
	s_cbranch_vccnz .LBB0_8
; %bb.1:
	s_load_b64 s[2:3], s[0:1], 0x10
	v_mov_b32_e32 v12, 0
	v_mov_b32_e32 v13, 0
	s_delay_alu instid0(VALU_DEP_2)
	v_mov_b32_e32 v1, v12
	s_add_nc_u64 s[16:17], s[14:15], 8
	s_add_nc_u64 s[18:19], s[12:13], 8
	s_mov_b64 s[20:21], 1
	v_mov_b32_e32 v2, v13
	s_wait_kmcnt 0x0
	s_add_nc_u64 s[22:23], s[2:3], 8
	s_mov_b32 s3, 0
.LBB0_2:                                ; =>This Inner Loop Header: Depth=1
	s_load_b64 s[24:25], s[22:23], 0x0
                                        ; implicit-def: $vgpr7_vgpr8
	s_mov_b32 s2, exec_lo
	s_wait_kmcnt 0x0
	v_or_b32_e32 v4, s25, v6
	s_delay_alu instid0(VALU_DEP_1)
	v_cmpx_ne_u64_e32 0, v[3:4]
	s_wait_alu 0xfffe
	s_xor_b32 s26, exec_lo, s2
	s_cbranch_execz .LBB0_4
; %bb.3:                                ;   in Loop: Header=BB0_2 Depth=1
	s_cvt_f32_u32 s2, s24
	s_cvt_f32_u32 s27, s25
	s_sub_nc_u64 s[30:31], 0, s[24:25]
	s_wait_alu 0xfffe
	s_delay_alu instid0(SALU_CYCLE_1) | instskip(SKIP_1) | instid1(SALU_CYCLE_2)
	s_fmamk_f32 s2, s27, 0x4f800000, s2
	s_wait_alu 0xfffe
	v_s_rcp_f32 s2, s2
	s_delay_alu instid0(TRANS32_DEP_1) | instskip(SKIP_1) | instid1(SALU_CYCLE_2)
	s_mul_f32 s2, s2, 0x5f7ffffc
	s_wait_alu 0xfffe
	s_mul_f32 s27, s2, 0x2f800000
	s_wait_alu 0xfffe
	s_delay_alu instid0(SALU_CYCLE_2) | instskip(SKIP_1) | instid1(SALU_CYCLE_2)
	s_trunc_f32 s27, s27
	s_wait_alu 0xfffe
	s_fmamk_f32 s2, s27, 0xcf800000, s2
	s_cvt_u32_f32 s29, s27
	s_wait_alu 0xfffe
	s_delay_alu instid0(SALU_CYCLE_1) | instskip(SKIP_1) | instid1(SALU_CYCLE_2)
	s_cvt_u32_f32 s28, s2
	s_wait_alu 0xfffe
	s_mul_u64 s[34:35], s[30:31], s[28:29]
	s_wait_alu 0xfffe
	s_mul_hi_u32 s37, s28, s35
	s_mul_i32 s36, s28, s35
	s_mul_hi_u32 s2, s28, s34
	s_mul_i32 s33, s29, s34
	s_wait_alu 0xfffe
	s_add_nc_u64 s[36:37], s[2:3], s[36:37]
	s_mul_hi_u32 s27, s29, s34
	s_mul_hi_u32 s38, s29, s35
	s_add_co_u32 s2, s36, s33
	s_wait_alu 0xfffe
	s_add_co_ci_u32 s2, s37, s27
	s_mul_i32 s34, s29, s35
	s_add_co_ci_u32 s35, s38, 0
	s_wait_alu 0xfffe
	s_add_nc_u64 s[34:35], s[2:3], s[34:35]
	s_wait_alu 0xfffe
	v_add_co_u32 v4, s2, s28, s34
	s_delay_alu instid0(VALU_DEP_1) | instskip(SKIP_1) | instid1(VALU_DEP_1)
	s_cmp_lg_u32 s2, 0
	s_add_co_ci_u32 s29, s29, s35
	v_readfirstlane_b32 s28, v4
	s_wait_alu 0xfffe
	s_delay_alu instid0(VALU_DEP_1)
	s_mul_u64 s[30:31], s[30:31], s[28:29]
	s_wait_alu 0xfffe
	s_mul_hi_u32 s35, s28, s31
	s_mul_i32 s34, s28, s31
	s_mul_hi_u32 s2, s28, s30
	s_mul_i32 s33, s29, s30
	s_wait_alu 0xfffe
	s_add_nc_u64 s[34:35], s[2:3], s[34:35]
	s_mul_hi_u32 s27, s29, s30
	s_mul_hi_u32 s28, s29, s31
	s_wait_alu 0xfffe
	s_add_co_u32 s2, s34, s33
	s_add_co_ci_u32 s2, s35, s27
	s_mul_i32 s30, s29, s31
	s_add_co_ci_u32 s31, s28, 0
	s_wait_alu 0xfffe
	s_add_nc_u64 s[30:31], s[2:3], s[30:31]
	s_wait_alu 0xfffe
	v_add_co_u32 v4, s2, v4, s30
	s_delay_alu instid0(VALU_DEP_1) | instskip(SKIP_1) | instid1(VALU_DEP_1)
	s_cmp_lg_u32 s2, 0
	s_add_co_ci_u32 s2, s29, s31
	v_mul_hi_u32 v9, v5, v4
	s_wait_alu 0xfffe
	v_mad_co_u64_u32 v[7:8], null, v5, s2, 0
	v_mad_co_u64_u32 v[14:15], null, v6, v4, 0
	;; [unrolled: 1-line block ×3, first 2 shown]
	s_delay_alu instid0(VALU_DEP_3) | instskip(SKIP_1) | instid1(VALU_DEP_4)
	v_add_co_u32 v4, vcc_lo, v9, v7
	s_wait_alu 0xfffd
	v_add_co_ci_u32_e32 v7, vcc_lo, 0, v8, vcc_lo
	s_delay_alu instid0(VALU_DEP_2) | instskip(SKIP_1) | instid1(VALU_DEP_2)
	v_add_co_u32 v4, vcc_lo, v4, v14
	s_wait_alu 0xfffd
	v_add_co_ci_u32_e32 v4, vcc_lo, v7, v15, vcc_lo
	s_wait_alu 0xfffd
	v_add_co_ci_u32_e32 v7, vcc_lo, 0, v17, vcc_lo
	s_delay_alu instid0(VALU_DEP_2) | instskip(SKIP_1) | instid1(VALU_DEP_2)
	v_add_co_u32 v4, vcc_lo, v4, v16
	s_wait_alu 0xfffd
	v_add_co_ci_u32_e32 v9, vcc_lo, 0, v7, vcc_lo
	s_delay_alu instid0(VALU_DEP_2) | instskip(SKIP_1) | instid1(VALU_DEP_3)
	v_mul_lo_u32 v11, s25, v4
	v_mad_co_u64_u32 v[7:8], null, s24, v4, 0
	v_mul_lo_u32 v14, s24, v9
	s_delay_alu instid0(VALU_DEP_2) | instskip(NEXT) | instid1(VALU_DEP_2)
	v_sub_co_u32 v7, vcc_lo, v5, v7
	v_add3_u32 v8, v8, v14, v11
	s_delay_alu instid0(VALU_DEP_1) | instskip(SKIP_1) | instid1(VALU_DEP_1)
	v_sub_nc_u32_e32 v11, v6, v8
	s_wait_alu 0xfffd
	v_subrev_co_ci_u32_e64 v11, s2, s25, v11, vcc_lo
	v_add_co_u32 v14, s2, v4, 2
	s_wait_alu 0xf1ff
	v_add_co_ci_u32_e64 v15, s2, 0, v9, s2
	v_sub_co_u32 v16, s2, v7, s24
	v_sub_co_ci_u32_e32 v8, vcc_lo, v6, v8, vcc_lo
	s_wait_alu 0xf1ff
	v_subrev_co_ci_u32_e64 v11, s2, 0, v11, s2
	s_delay_alu instid0(VALU_DEP_3) | instskip(NEXT) | instid1(VALU_DEP_3)
	v_cmp_le_u32_e32 vcc_lo, s24, v16
	v_cmp_eq_u32_e64 s2, s25, v8
	s_wait_alu 0xfffd
	v_cndmask_b32_e64 v16, 0, -1, vcc_lo
	v_cmp_le_u32_e32 vcc_lo, s25, v11
	s_wait_alu 0xfffd
	v_cndmask_b32_e64 v17, 0, -1, vcc_lo
	v_cmp_le_u32_e32 vcc_lo, s24, v7
	;; [unrolled: 3-line block ×3, first 2 shown]
	s_wait_alu 0xfffd
	v_cndmask_b32_e64 v18, 0, -1, vcc_lo
	v_cmp_eq_u32_e32 vcc_lo, s25, v11
	s_wait_alu 0xf1ff
	s_delay_alu instid0(VALU_DEP_2)
	v_cndmask_b32_e64 v7, v18, v7, s2
	s_wait_alu 0xfffd
	v_cndmask_b32_e32 v11, v17, v16, vcc_lo
	v_add_co_u32 v16, vcc_lo, v4, 1
	s_wait_alu 0xfffd
	v_add_co_ci_u32_e32 v17, vcc_lo, 0, v9, vcc_lo
	s_delay_alu instid0(VALU_DEP_3) | instskip(SKIP_1) | instid1(VALU_DEP_2)
	v_cmp_ne_u32_e32 vcc_lo, 0, v11
	s_wait_alu 0xfffd
	v_dual_cndmask_b32 v8, v17, v15 :: v_dual_cndmask_b32 v11, v16, v14
	v_cmp_ne_u32_e32 vcc_lo, 0, v7
	s_wait_alu 0xfffd
	s_delay_alu instid0(VALU_DEP_2)
	v_dual_cndmask_b32 v8, v9, v8 :: v_dual_cndmask_b32 v7, v4, v11
.LBB0_4:                                ;   in Loop: Header=BB0_2 Depth=1
	s_wait_alu 0xfffe
	s_and_not1_saveexec_b32 s2, s26
	s_cbranch_execz .LBB0_6
; %bb.5:                                ;   in Loop: Header=BB0_2 Depth=1
	v_cvt_f32_u32_e32 v4, s24
	s_sub_co_i32 s26, 0, s24
	s_delay_alu instid0(VALU_DEP_1) | instskip(NEXT) | instid1(TRANS32_DEP_1)
	v_rcp_iflag_f32_e32 v4, v4
	v_mul_f32_e32 v4, 0x4f7ffffe, v4
	s_delay_alu instid0(VALU_DEP_1) | instskip(SKIP_1) | instid1(VALU_DEP_1)
	v_cvt_u32_f32_e32 v4, v4
	s_wait_alu 0xfffe
	v_mul_lo_u32 v7, s26, v4
	s_delay_alu instid0(VALU_DEP_1) | instskip(NEXT) | instid1(VALU_DEP_1)
	v_mul_hi_u32 v7, v4, v7
	v_add_nc_u32_e32 v4, v4, v7
	s_delay_alu instid0(VALU_DEP_1) | instskip(NEXT) | instid1(VALU_DEP_1)
	v_mul_hi_u32 v4, v5, v4
	v_mul_lo_u32 v7, v4, s24
	v_add_nc_u32_e32 v8, 1, v4
	s_delay_alu instid0(VALU_DEP_2) | instskip(NEXT) | instid1(VALU_DEP_1)
	v_sub_nc_u32_e32 v7, v5, v7
	v_subrev_nc_u32_e32 v9, s24, v7
	v_cmp_le_u32_e32 vcc_lo, s24, v7
	s_wait_alu 0xfffd
	s_delay_alu instid0(VALU_DEP_2) | instskip(NEXT) | instid1(VALU_DEP_1)
	v_dual_cndmask_b32 v7, v7, v9 :: v_dual_cndmask_b32 v4, v4, v8
	v_cmp_le_u32_e32 vcc_lo, s24, v7
	s_delay_alu instid0(VALU_DEP_2) | instskip(SKIP_1) | instid1(VALU_DEP_1)
	v_add_nc_u32_e32 v8, 1, v4
	s_wait_alu 0xfffd
	v_dual_cndmask_b32 v7, v4, v8 :: v_dual_mov_b32 v8, v3
.LBB0_6:                                ;   in Loop: Header=BB0_2 Depth=1
	s_wait_alu 0xfffe
	s_or_b32 exec_lo, exec_lo, s2
	s_delay_alu instid0(VALU_DEP_1) | instskip(NEXT) | instid1(VALU_DEP_2)
	v_mul_lo_u32 v4, v8, s24
	v_mul_lo_u32 v9, v7, s25
	s_load_b64 s[26:27], s[18:19], 0x0
	v_mad_co_u64_u32 v[14:15], null, v7, s24, 0
	s_load_b64 s[24:25], s[16:17], 0x0
	s_add_nc_u64 s[20:21], s[20:21], 1
	s_add_nc_u64 s[16:17], s[16:17], 8
	s_wait_alu 0xfffe
	v_cmp_ge_u64_e64 s2, s[20:21], s[6:7]
	s_add_nc_u64 s[18:19], s[18:19], 8
	s_add_nc_u64 s[22:23], s[22:23], 8
	v_add3_u32 v4, v15, v9, v4
	v_sub_co_u32 v5, vcc_lo, v5, v14
	s_wait_alu 0xfffd
	s_delay_alu instid0(VALU_DEP_2) | instskip(SKIP_2) | instid1(VALU_DEP_1)
	v_sub_co_ci_u32_e32 v4, vcc_lo, v6, v4, vcc_lo
	s_and_b32 vcc_lo, exec_lo, s2
	s_wait_kmcnt 0x0
	v_mul_lo_u32 v6, s26, v4
	v_mul_lo_u32 v9, s27, v5
	v_mad_co_u64_u32 v[12:13], null, s26, v5, v[12:13]
	v_mul_lo_u32 v4, s24, v4
	v_mul_lo_u32 v11, s25, v5
	v_mad_co_u64_u32 v[1:2], null, s24, v5, v[1:2]
	s_delay_alu instid0(VALU_DEP_4) | instskip(NEXT) | instid1(VALU_DEP_2)
	v_add3_u32 v13, v9, v13, v6
	v_add3_u32 v2, v11, v2, v4
	s_wait_alu 0xfffe
	s_cbranch_vccnz .LBB0_9
; %bb.7:                                ;   in Loop: Header=BB0_2 Depth=1
	v_dual_mov_b32 v5, v7 :: v_dual_mov_b32 v6, v8
	s_branch .LBB0_2
.LBB0_8:
	v_dual_mov_b32 v1, v12 :: v_dual_mov_b32 v2, v13
	v_dual_mov_b32 v8, v6 :: v_dual_mov_b32 v7, v5
.LBB0_9:
	s_load_b64 s[0:1], s[0:1], 0x28
	v_and_b32_e32 v3, 1, v0
	s_lshl_b64 s[6:7], s[6:7], 3
                                        ; implicit-def: $sgpr2_sgpr3
                                        ; implicit-def: $vgpr9
                                        ; implicit-def: $vgpr4
                                        ; implicit-def: $vgpr11
                                        ; implicit-def: $vgpr5
	s_wait_kmcnt 0x0
	v_cmp_gt_u64_e32 vcc_lo, s[0:1], v[7:8]
	v_cmp_le_u64_e64 s0, s[0:1], v[7:8]
	s_delay_alu instid0(VALU_DEP_1)
	s_and_saveexec_b32 s1, s0
	s_wait_alu 0xfffe
	s_xor_b32 s0, exec_lo, s1
; %bb.10:
	v_and_b32_e32 v3, 1, v0
	s_mov_b64 s[2:3], 0
                                        ; implicit-def: $vgpr12_vgpr13
	s_delay_alu instid0(VALU_DEP_1)
	v_or_b32_e32 v9, 2, v3
	v_or_b32_e32 v4, 4, v3
	;; [unrolled: 1-line block ×4, first 2 shown]
; %bb.11:
	s_wait_alu 0xfffe
	s_or_saveexec_b32 s1, s0
	v_dual_mov_b32 v28, s3 :: v_dual_mov_b32 v27, s2
	s_add_nc_u64 s[2:3], s[14:15], s[6:7]
                                        ; implicit-def: $vgpr40
                                        ; implicit-def: $vgpr38
                                        ; implicit-def: $vgpr30
                                        ; implicit-def: $vgpr24
                                        ; implicit-def: $vgpr20
                                        ; implicit-def: $vgpr22
                                        ; implicit-def: $vgpr32
                                        ; implicit-def: $vgpr34
                                        ; implicit-def: $vgpr36
                                        ; implicit-def: $vgpr26
	s_wait_alu 0xfffe
	s_xor_b32 exec_lo, exec_lo, s1
	s_cbranch_execz .LBB0_13
; %bb.12:
	s_add_nc_u64 s[6:7], s[12:13], s[6:7]
	v_lshlrev_b64_e32 v[11:12], 3, v[12:13]
	s_load_b64 s[6:7], s[6:7], 0x0
	v_or_b32_e32 v9, 2, v3
	s_wait_kmcnt 0x0
	v_mul_lo_u32 v0, s7, v7
	v_mul_lo_u32 v6, s6, v8
	v_mad_co_u64_u32 v[4:5], null, s6, v7, 0
	s_delay_alu instid0(VALU_DEP_1) | instskip(NEXT) | instid1(VALU_DEP_1)
	v_add3_u32 v5, v5, v6, v0
	v_lshlrev_b64_e32 v[4:5], 3, v[4:5]
	s_delay_alu instid0(VALU_DEP_1) | instskip(SKIP_1) | instid1(VALU_DEP_2)
	v_add_co_u32 v0, s0, s8, v4
	s_wait_alu 0xf1ff
	v_add_co_ci_u32_e64 v4, s0, s9, v5, s0
	v_lshlrev_b32_e32 v5, 3, v3
	s_delay_alu instid0(VALU_DEP_3) | instskip(SKIP_1) | instid1(VALU_DEP_3)
	v_add_co_u32 v0, s0, v0, v11
	s_wait_alu 0xf1ff
	v_add_co_ci_u32_e64 v6, s0, v4, v12, s0
	v_or_b32_e32 v11, 6, v3
	s_delay_alu instid0(VALU_DEP_3) | instskip(SKIP_1) | instid1(VALU_DEP_3)
	v_add_co_u32 v4, s0, v0, v5
	s_wait_alu 0xf1ff
	v_add_co_ci_u32_e64 v5, s0, 0, v6, s0
	s_clause 0xa
	global_load_b64 v[27:28], v[4:5], off
	global_load_b64 v[39:40], v[4:5], off offset:16
	global_load_b64 v[37:38], v[4:5], off offset:32
	;; [unrolled: 1-line block ×10, first 2 shown]
	v_or_b32_e32 v4, 4, v3
	v_or_b32_e32 v5, 8, v3
.LBB0_13:
	s_or_b32 exec_lo, exec_lo, s1
	v_mul_u32_u24_e32 v6, 22, v10
	s_wait_loadcnt 0x0
	v_dual_sub_f32 v10, v40, v34 :: v_dual_add_f32 v13, v37, v35
	v_add_f32_e32 v0, v39, v27
	v_add_f32_e32 v12, v39, v33
	v_lshl_add_u32 v6, v6, 2, 0
	s_delay_alu instid0(VALU_DEP_4) | instskip(SKIP_3) | instid1(VALU_DEP_2)
	v_mul_f32_e32 v17, 0xbf7d64f0, v10
	v_mul_f32_e32 v15, 0xbf0a6770, v10
	s_load_b64 s[2:3], s[2:3], 0x0
	v_cmp_eq_u32_e64 s0, 0, v3
	v_fmamk_f32 v44, v12, 0x3f575c64, v15
	v_fma_f32 v15, 0x3f575c64, v12, -v15
	s_delay_alu instid0(VALU_DEP_1) | instskip(NEXT) | instid1(VALU_DEP_1)
	v_dual_mul_f32 v16, 0xbf68dda4, v10 :: v_dual_add_f32 v15, v15, v27
	v_dual_sub_f32 v14, v38, v36 :: v_dual_fmamk_f32 v45, v12, 0x3ed4b147, v16
	v_add_f32_e32 v0, v37, v0
	v_mul_f32_e32 v18, 0xbf4178ce, v10
	v_fma_f32 v16, 0x3ed4b147, v12, -v16
	s_delay_alu instid0(VALU_DEP_4)
	v_mul_f32_e32 v41, 0xbf68dda4, v14
	v_add_f32_e32 v45, v45, v27
	v_dual_add_f32 v0, v29, v0 :: v_dual_mul_f32 v43, 0x3e903f40, v14
	v_fmamk_f32 v46, v12, 0xbe11bafb, v17
	v_fma_f32 v17, 0xbe11bafb, v12, -v17
	v_mul_f32_e32 v10, 0xbe903f40, v10
	s_delay_alu instid0(VALU_DEP_4) | instskip(SKIP_1) | instid1(VALU_DEP_3)
	v_dual_add_f32 v0, v23, v0 :: v_dual_fmamk_f32 v47, v12, 0xbf27a4f4, v18
	v_fma_f32 v18, 0xbf27a4f4, v12, -v18
	v_dual_add_f32 v17, v17, v27 :: v_dual_fmamk_f32 v48, v12, 0xbf75a155, v10
	v_fma_f32 v10, 0xbf75a155, v12, -v10
	v_fmamk_f32 v12, v13, 0x3ed4b147, v41
	v_fma_f32 v41, 0x3ed4b147, v13, -v41
	v_dual_mul_f32 v42, 0xbf4178ce, v14 :: v_dual_add_f32 v47, v47, v27
	v_add_f32_e32 v0, v19, v0
	v_add_f32_e32 v46, v46, v27
	s_delay_alu instid0(VALU_DEP_4) | instskip(SKIP_4) | instid1(VALU_DEP_4)
	v_add_f32_e32 v15, v41, v15
	v_dual_fmamk_f32 v41, v13, 0xbf75a155, v43 :: v_dual_add_f32 v44, v44, v27
	v_add_f32_e32 v18, v18, v27
	v_add_f32_e32 v10, v10, v27
	v_fma_f32 v43, 0xbf75a155, v13, -v43
	v_add_f32_e32 v41, v41, v46
	v_add_f32_e32 v46, v29, v31
	;; [unrolled: 1-line block ×3, first 2 shown]
	v_dual_add_f32 v48, v48, v27 :: v_dual_fmamk_f32 v27, v13, 0xbf27a4f4, v42
	v_dual_add_f32 v0, v21, v0 :: v_dual_add_f32 v17, v43, v17
	v_fma_f32 v42, 0xbf27a4f4, v13, -v42
	v_sub_f32_e32 v43, v30, v32
	v_add_f32_e32 v12, v12, v44
	s_delay_alu instid0(VALU_DEP_4) | instskip(NEXT) | instid1(VALU_DEP_4)
	v_dual_add_f32 v0, v25, v0 :: v_dual_add_f32 v27, v27, v45
	v_add_f32_e32 v16, v42, v16
	v_mul_f32_e32 v42, 0x3f7d64f0, v14
	v_mul_f32_e32 v14, 0x3f0a6770, v14
	s_delay_alu instid0(VALU_DEP_4) | instskip(NEXT) | instid1(VALU_DEP_3)
	v_dual_mul_f32 v49, 0xbf7d64f0, v43 :: v_dual_add_f32 v0, v31, v0
	v_fmamk_f32 v44, v13, 0xbe11bafb, v42
	v_fma_f32 v42, 0xbe11bafb, v13, -v42
	s_delay_alu instid0(VALU_DEP_4) | instskip(SKIP_3) | instid1(VALU_DEP_3)
	v_fmamk_f32 v45, v13, 0x3f575c64, v14
	v_fma_f32 v13, 0x3f575c64, v13, -v14
	v_add_f32_e32 v0, v35, v0
	v_add_f32_e32 v44, v44, v47
	v_dual_mul_f32 v47, 0x3f68dda4, v43 :: v_dual_add_f32 v10, v13, v10
	v_fma_f32 v13, 0xbe11bafb, v46, -v49
	s_delay_alu instid0(VALU_DEP_1) | instskip(NEXT) | instid1(VALU_DEP_3)
	v_add_f32_e32 v13, v13, v15
	v_fmamk_f32 v15, v46, 0x3ed4b147, v47
	v_fma_f32 v47, 0x3ed4b147, v46, -v47
	s_delay_alu instid0(VALU_DEP_2) | instskip(NEXT) | instid1(VALU_DEP_2)
	v_add_f32_e32 v15, v15, v41
	v_dual_add_f32 v17, v47, v17 :: v_dual_add_f32 v14, v42, v18
	v_dual_fmamk_f32 v42, v46, 0xbe11bafb, v49 :: v_dual_sub_f32 v41, v24, v26
	v_dual_add_f32 v18, v45, v48 :: v_dual_mul_f32 v45, 0x3e903f40, v43
	s_delay_alu instid0(VALU_DEP_2) | instskip(NEXT) | instid1(VALU_DEP_3)
	v_dual_add_f32 v47, v23, v25 :: v_dual_add_f32 v12, v42, v12
	v_mul_f32_e32 v48, 0xbf4178ce, v41
	s_delay_alu instid0(VALU_DEP_3) | instskip(SKIP_2) | instid1(VALU_DEP_3)
	v_fmamk_f32 v42, v46, 0xbf75a155, v45
	v_add_f32_e32 v0, v33, v0
	v_fma_f32 v45, 0xbf75a155, v46, -v45
	v_add_f32_e32 v27, v42, v27
	v_mul_f32_e32 v42, 0xbf0a6770, v43
	s_delay_alu instid0(VALU_DEP_3) | instskip(NEXT) | instid1(VALU_DEP_2)
	v_dual_add_f32 v16, v45, v16 :: v_dual_mul_f32 v43, 0xbf4178ce, v43
	v_fmamk_f32 v45, v46, 0x3f575c64, v42
	v_fma_f32 v42, 0x3f575c64, v46, -v42
	s_delay_alu instid0(VALU_DEP_2) | instskip(NEXT) | instid1(VALU_DEP_2)
	v_dual_fmamk_f32 v49, v46, 0xbf27a4f4, v43 :: v_dual_add_f32 v44, v45, v44
	v_add_f32_e32 v14, v42, v14
	v_fma_f32 v42, 0xbf27a4f4, v46, -v43
	v_fmamk_f32 v43, v47, 0xbf27a4f4, v48
	v_mul_f32_e32 v45, 0x3f7d64f0, v41
	v_fma_f32 v46, 0xbf27a4f4, v47, -v48
	s_delay_alu instid0(VALU_DEP_3) | instskip(NEXT) | instid1(VALU_DEP_3)
	v_add_f32_e32 v12, v43, v12
	v_fmamk_f32 v43, v47, 0xbe11bafb, v45
	s_delay_alu instid0(VALU_DEP_3) | instskip(SKIP_2) | instid1(VALU_DEP_4)
	v_add_f32_e32 v13, v46, v13
	v_mul_f32_e32 v46, 0xbe903f40, v41
	v_fma_f32 v45, 0xbe11bafb, v47, -v45
	v_add_f32_e32 v27, v43, v27
	s_delay_alu instid0(VALU_DEP_3) | instskip(SKIP_2) | instid1(VALU_DEP_2)
	v_dual_fmamk_f32 v43, v47, 0xbf75a155, v46 :: v_dual_add_f32 v10, v42, v10
	v_mul_f32_e32 v42, 0xbf0a6770, v41
	v_mul_f32_e32 v41, 0x3f68dda4, v41
	v_fmamk_f32 v48, v47, 0x3f575c64, v42
	v_fma_f32 v42, 0x3f575c64, v47, -v42
	s_delay_alu instid0(VALU_DEP_2) | instskip(NEXT) | instid1(VALU_DEP_2)
	v_add_f32_e32 v15, v48, v15
	v_dual_add_f32 v17, v42, v17 :: v_dual_sub_f32 v42, v20, v22
	v_add_f32_e32 v43, v43, v44
	v_fma_f32 v44, 0xbf75a155, v47, -v46
	v_add_f32_e32 v46, v19, v21
	v_add_f32_e32 v16, v45, v16
	v_mul_f32_e32 v48, 0xbe903f40, v42
	v_dual_add_f32 v18, v49, v18 :: v_dual_fmamk_f32 v45, v47, 0x3ed4b147, v41
	v_fma_f32 v41, 0x3ed4b147, v47, -v41
	v_add_f32_e32 v14, v44, v14
	s_delay_alu instid0(VALU_DEP_4) | instskip(SKIP_3) | instid1(VALU_DEP_4)
	v_fma_f32 v47, 0xbf75a155, v46, -v48
	v_mul_f32_e32 v44, 0x3f0a6770, v42
	v_dual_add_f32 v18, v45, v18 :: v_dual_fmamk_f32 v45, v46, 0xbf75a155, v48
	v_lshl_add_u32 v49, v5, 2, v6
	v_add_f32_e32 v13, v47, v13
	v_add_f32_e32 v41, v41, v10
	v_mul_f32_e32 v10, 0xbf4178ce, v42
	v_fmamk_f32 v48, v46, 0x3f575c64, v44
	v_fma_f32 v44, 0x3f575c64, v46, -v44
	v_dual_mul_f32 v47, 0x3f68dda4, v42 :: v_dual_add_f32 v12, v45, v12
	s_delay_alu instid0(VALU_DEP_4) | instskip(SKIP_1) | instid1(VALU_DEP_4)
	v_fmamk_f32 v45, v46, 0xbf27a4f4, v10
	v_mul_f32_e32 v42, 0xbf7d64f0, v42
	v_add_f32_e32 v16, v44, v16
	v_fma_f32 v44, 0xbf27a4f4, v46, -v10
	s_delay_alu instid0(VALU_DEP_4) | instskip(SKIP_3) | instid1(VALU_DEP_4)
	v_dual_fmamk_f32 v10, v46, 0x3ed4b147, v47 :: v_dual_add_f32 v15, v45, v15
	v_fma_f32 v45, 0x3ed4b147, v46, -v47
	v_fmamk_f32 v47, v46, 0xbe11bafb, v42
	v_fma_f32 v42, 0xbe11bafb, v46, -v42
	v_add_f32_e32 v43, v10, v43
	v_mad_u32_u24 v10, v3, 44, v6
	s_delay_alu instid0(VALU_DEP_4) | instskip(NEXT) | instid1(VALU_DEP_4)
	v_dual_add_f32 v27, v48, v27 :: v_dual_add_f32 v18, v47, v18
	v_dual_add_f32 v14, v45, v14 :: v_dual_add_f32 v41, v42, v41
	v_add_f32_e32 v17, v44, v17
	ds_store_2addr_b32 v10, v0, v12 offset1:1
	ds_store_2addr_b32 v10, v27, v15 offset0:2 offset1:3
	ds_store_2addr_b32 v10, v43, v18 offset0:4 offset1:5
	;; [unrolled: 1-line block ×4, first 2 shown]
	ds_store_b32 v10, v13 offset:40
	v_mad_i32_i24 v12, 0xffffffd8, v3, v10
	v_lshl_add_u32 v45, v3, 2, v6
	v_lshl_add_u32 v46, v9, 2, v6
	;; [unrolled: 1-line block ×4, first 2 shown]
	global_wb scope:SCOPE_SE
	s_wait_dscnt 0x0
	s_wait_kmcnt 0x0
	s_barrier_signal -1
	s_barrier_wait -1
	global_inv scope:SCOPE_SE
	ds_load_2addr_b32 v[15:16], v12 offset0:11 offset1:13
	ds_load_2addr_b32 v[17:18], v12 offset0:15 offset1:17
	ds_load_b32 v27, v45
	ds_load_b32 v44, v12 offset:76
	ds_load_b32 v41, v46
	ds_load_b32 v0, v47
	;; [unrolled: 1-line block ×4, first 2 shown]
	s_and_saveexec_b32 s1, s0
	s_cbranch_execz .LBB0_15
; %bb.14:
	ds_load_2addr_b32 v[13:14], v6 offset0:10 offset1:21
.LBB0_15:
	s_wait_alu 0xfffe
	s_or_b32 exec_lo, exec_lo, s1
	v_dual_add_f32 v50, v40, v28 :: v_dual_sub_f32 v33, v39, v33
	v_sub_f32_e32 v35, v37, v35
	v_dual_add_f32 v39, v40, v34 :: v_dual_add_f32 v40, v38, v36
	s_delay_alu instid0(VALU_DEP_3)
	v_dual_add_f32 v37, v38, v50 :: v_dual_mul_f32 v50, 0xbf68dda4, v33
	v_dual_mul_f32 v38, 0xbf0a6770, v33 :: v_dual_sub_f32 v29, v29, v31
	global_wb scope:SCOPE_SE
	s_wait_dscnt 0x0
	v_dual_add_f32 v37, v30, v37 :: v_dual_mul_f32 v54, 0xbf4178ce, v35
	v_fma_f32 v56, 0x3f575c64, v39, -v38
	v_fma_f32 v57, 0x3ed4b147, v39, -v50
	v_mul_f32_e32 v52, 0xbf4178ce, v33
	s_delay_alu instid0(VALU_DEP_4) | instskip(SKIP_2) | instid1(VALU_DEP_3)
	v_dual_add_f32 v37, v24, v37 :: v_dual_fmac_f32 v38, 0x3f575c64, v39
	v_fmac_f32_e32 v50, 0x3ed4b147, v39
	v_dual_mul_f32 v51, 0xbf7d64f0, v33 :: v_dual_add_f32 v56, v56, v28
	v_add_f32_e32 v37, v20, v37
	s_delay_alu instid0(VALU_DEP_4) | instskip(SKIP_2) | instid1(VALU_DEP_4)
	v_dual_mul_f32 v33, 0xbe903f40, v33 :: v_dual_add_f32 v38, v38, v28
	v_add_f32_e32 v57, v57, v28
	v_fma_f32 v59, 0xbf27a4f4, v39, -v52
	v_dual_fmac_f32 v52, 0xbf27a4f4, v39 :: v_dual_add_f32 v37, v22, v37
	s_delay_alu instid0(VALU_DEP_4) | instskip(SKIP_2) | instid1(VALU_DEP_4)
	v_fma_f32 v60, 0xbf75a155, v39, -v33
	v_fmac_f32_e32 v33, 0xbf75a155, v39
	v_dual_mul_f32 v53, 0xbf68dda4, v35 :: v_dual_add_f32 v50, v50, v28
	v_add_f32_e32 v37, v26, v37
	v_fma_f32 v58, 0xbe11bafb, v39, -v51
	v_fma_f32 v61, 0xbf27a4f4, v40, -v54
	v_fmac_f32_e32 v54, 0xbf27a4f4, v40
	v_mul_f32_e32 v55, 0x3e903f40, v35
	v_add_f32_e32 v37, v32, v37
	v_fmac_f32_e32 v51, 0xbe11bafb, v39
	v_fma_f32 v39, 0x3ed4b147, v40, -v53
	v_dual_fmac_f32 v53, 0x3ed4b147, v40 :: v_dual_add_f32 v50, v54, v50
	s_delay_alu instid0(VALU_DEP_3) | instskip(SKIP_3) | instid1(VALU_DEP_4)
	v_dual_add_f32 v36, v36, v37 :: v_dual_add_f32 v51, v51, v28
	v_add_f32_e32 v37, v52, v28
	v_add_f32_e32 v52, v60, v28
	;; [unrolled: 1-line block ×4, first 2 shown]
	v_dual_add_f32 v36, v53, v38 :: v_dual_mul_f32 v53, 0x3f7d64f0, v35
	v_dual_add_f32 v30, v30, v32 :: v_dual_mul_f32 v35, 0x3f0a6770, v35
	v_fma_f32 v38, 0xbf75a155, v40, -v55
	v_add_f32_e32 v59, v59, v28
	v_add_f32_e32 v28, v33, v28
	v_fma_f32 v31, 0xbe11bafb, v40, -v53
	v_fma_f32 v54, 0x3f575c64, v40, -v35
	v_dual_add_f32 v38, v38, v58 :: v_dual_fmac_f32 v35, 0x3f575c64, v40
	v_fmac_f32_e32 v53, 0xbe11bafb, v40
	v_fmac_f32_e32 v55, 0xbf75a155, v40
	s_delay_alu instid0(VALU_DEP_4)
	v_add_f32_e32 v40, v54, v52
	v_add_f32_e32 v24, v24, v26
	;; [unrolled: 1-line block ×3, first 2 shown]
	v_dual_mul_f32 v32, 0xbf7d64f0, v29 :: v_dual_add_f32 v33, v39, v56
	v_add_f32_e32 v37, v53, v37
	v_mul_f32_e32 v53, 0x3e903f40, v29
	v_sub_f32_e32 v23, v23, v25
	s_delay_alu instid0(VALU_DEP_4) | instskip(SKIP_2) | instid1(VALU_DEP_3)
	v_fma_f32 v52, 0xbe11bafb, v30, -v32
	v_dual_add_f32 v39, v61, v57 :: v_dual_fmac_f32 v32, 0xbe11bafb, v30
	v_add_f32_e32 v31, v31, v59
	v_dual_mul_f32 v26, 0xbf4178ce, v23 :: v_dual_add_f32 v33, v52, v33
	v_fma_f32 v52, 0xbf75a155, v30, -v53
	s_delay_alu instid0(VALU_DEP_4) | instskip(SKIP_2) | instid1(VALU_DEP_2)
	v_dual_fmac_f32 v53, 0xbf75a155, v30 :: v_dual_add_f32 v32, v32, v36
	v_mul_f32_e32 v25, 0xbf4178ce, v29
	s_barrier_signal -1
	v_dual_add_f32 v39, v52, v39 :: v_dual_add_f32 v50, v53, v50
	v_mul_f32_e32 v35, 0x3f68dda4, v29
	v_dual_mul_f32 v52, 0xbf0a6770, v29 :: v_dual_add_f32 v51, v55, v51
	s_barrier_wait -1
	global_inv scope:SCOPE_SE
	v_fma_f32 v36, 0x3ed4b147, v30, -v35
	v_fma_f32 v29, 0x3f575c64, v30, -v52
	v_fmac_f32_e32 v52, 0x3f575c64, v30
	v_dual_add_f32 v20, v20, v22 :: v_dual_sub_f32 v21, v19, v21
	s_delay_alu instid0(VALU_DEP_4)
	v_add_f32_e32 v36, v36, v38
	v_fmac_f32_e32 v35, 0x3ed4b147, v30
	v_fma_f32 v38, 0xbf27a4f4, v30, -v25
	v_add_f32_e32 v29, v29, v31
	v_add_f32_e32 v31, v52, v37
	v_fmac_f32_e32 v25, 0xbf27a4f4, v30
	v_fma_f32 v30, 0xbf27a4f4, v24, -v26
	v_add_f32_e32 v37, v38, v40
	v_fmac_f32_e32 v26, 0xbf27a4f4, v24
	s_delay_alu instid0(VALU_DEP_3) | instskip(SKIP_1) | instid1(VALU_DEP_3)
	v_dual_add_f32 v25, v25, v28 :: v_dual_add_f32 v28, v30, v33
	v_mul_f32_e32 v30, 0xbf0a6770, v23
	v_add_f32_e32 v26, v26, v32
	s_delay_alu instid0(VALU_DEP_2) | instskip(SKIP_3) | instid1(VALU_DEP_4)
	v_fma_f32 v40, 0x3f575c64, v24, -v30
	v_fmac_f32_e32 v30, 0x3f575c64, v24
	v_mul_f32_e32 v32, 0xbe903f40, v23
	v_mul_f32_e32 v38, 0x3f7d64f0, v23
	v_dual_mul_f32 v23, 0x3f68dda4, v23 :: v_dual_add_f32 v36, v40, v36
	v_add_f32_e32 v35, v35, v51
	s_delay_alu instid0(VALU_DEP_3) | instskip(SKIP_1) | instid1(VALU_DEP_4)
	v_fma_f32 v33, 0xbe11bafb, v24, -v38
	v_fmac_f32_e32 v38, 0xbe11bafb, v24
	v_fma_f32 v19, 0x3ed4b147, v24, -v23
	s_delay_alu instid0(VALU_DEP_4) | instskip(NEXT) | instid1(VALU_DEP_4)
	v_add_f32_e32 v30, v30, v35
	v_add_f32_e32 v33, v33, v39
	v_fma_f32 v39, 0xbf75a155, v24, -v32
	v_fmac_f32_e32 v32, 0xbf75a155, v24
	v_dual_add_f32 v38, v38, v50 :: v_dual_fmac_f32 v23, 0x3ed4b147, v24
	s_delay_alu instid0(VALU_DEP_2) | instskip(SKIP_1) | instid1(VALU_DEP_1)
	v_dual_add_f32 v24, v32, v31 :: v_dual_add_f32 v31, v19, v37
	v_mul_f32_e32 v22, 0xbe903f40, v21
	v_fma_f32 v19, 0xbf75a155, v20, -v22
	v_fmac_f32_e32 v22, 0xbf75a155, v20
	v_mul_f32_e32 v32, 0x3f0a6770, v21
	s_delay_alu instid0(VALU_DEP_2) | instskip(NEXT) | instid1(VALU_DEP_2)
	v_dual_add_f32 v28, v19, v28 :: v_dual_add_f32 v19, v22, v26
	v_fma_f32 v35, 0x3f575c64, v20, -v32
	v_dual_add_f32 v29, v39, v29 :: v_dual_fmac_f32 v32, 0x3f575c64, v20
	s_delay_alu instid0(VALU_DEP_2) | instskip(SKIP_1) | instid1(VALU_DEP_3)
	v_add_f32_e32 v26, v35, v33
	v_mul_f32_e32 v33, 0x3f68dda4, v21
	v_dual_add_f32 v23, v23, v25 :: v_dual_add_f32 v32, v32, v38
	s_delay_alu instid0(VALU_DEP_2) | instskip(SKIP_2) | instid1(VALU_DEP_2)
	v_fma_f32 v35, 0x3ed4b147, v20, -v33
	v_fmac_f32_e32 v33, 0x3ed4b147, v20
	v_mul_f32_e32 v25, 0xbf4178ce, v21
	v_dual_mul_f32 v21, 0xbf7d64f0, v21 :: v_dual_add_f32 v24, v33, v24
	s_delay_alu instid0(VALU_DEP_2) | instskip(SKIP_1) | instid1(VALU_DEP_2)
	v_fma_f32 v22, 0xbf27a4f4, v20, -v25
	v_fmac_f32_e32 v25, 0xbf27a4f4, v20
	v_add_f32_e32 v22, v22, v36
	s_delay_alu instid0(VALU_DEP_4) | instskip(NEXT) | instid1(VALU_DEP_3)
	v_fma_f32 v36, 0xbe11bafb, v20, -v21
	v_dual_fmac_f32 v21, 0xbe11bafb, v20 :: v_dual_add_f32 v20, v25, v30
	v_add_f32_e32 v25, v35, v29
	s_delay_alu instid0(VALU_DEP_3) | instskip(NEXT) | instid1(VALU_DEP_3)
	v_add_f32_e32 v29, v36, v31
	v_add_f32_e32 v21, v21, v23
	ds_store_2addr_b32 v10, v34, v28 offset1:1
	ds_store_2addr_b32 v10, v26, v22 offset0:2 offset1:3
	ds_store_2addr_b32 v10, v25, v29 offset0:4 offset1:5
	ds_store_2addr_b32 v10, v21, v24 offset0:6 offset1:7
	ds_store_2addr_b32 v10, v20, v32 offset0:8 offset1:9
	ds_store_b32 v10, v19 offset:40
	global_wb scope:SCOPE_SE
	s_wait_dscnt 0x0
	s_barrier_signal -1
	s_barrier_wait -1
	global_inv scope:SCOPE_SE
	ds_load_2addr_b32 v[23:24], v12 offset0:11 offset1:13
	ds_load_2addr_b32 v[25:26], v12 offset0:15 offset1:17
	ds_load_b32 v29, v45
	ds_load_b32 v33, v12 offset:76
	ds_load_b32 v30, v46
	ds_load_b32 v28, v47
	ds_load_b32 v31, v48
	ds_load_b32 v32, v49
	v_mov_b32_e32 v21, 0
	v_mov_b32_e32 v22, 0
	s_and_saveexec_b32 s1, s0
	s_cbranch_execz .LBB0_17
; %bb.16:
	ds_load_2addr_b32 v[19:20], v6 offset0:10 offset1:21
	v_mov_b32_e32 v21, 10
	v_mov_b32_e32 v22, 0
.LBB0_17:
	s_wait_alu 0xfffe
	s_or_b32 exec_lo, exec_lo, s1
	s_and_saveexec_b32 s0, vcc_lo
	s_cbranch_execz .LBB0_20
; %bb.18:
	v_dual_mov_b32 v6, 0 :: v_dual_add_nc_u32 v45, 2, v3
	v_mul_lo_u32 v22, s3, v7
	v_mul_lo_u32 v8, s2, v8
	v_mul_hi_u32 v40, 0xba2e8ba3, v3
	s_delay_alu instid0(VALU_DEP_4) | instskip(SKIP_3) | instid1(VALU_DEP_4)
	v_mov_b32_e32 v12, v6
	v_lshlrev_b64_e32 v[34:35], 3, v[5:6]
	v_dual_mov_b32 v5, v6 :: v_dual_mov_b32 v10, v6
	v_add_nc_u32_e32 v47, 6, v3
	v_lshlrev_b64_e32 v[11:12], 3, v[11:12]
	v_lshlrev_b64_e32 v[1:2], 3, v[1:2]
	v_add_co_u32 v34, vcc_lo, s4, v34
	v_lshlrev_b64_e32 v[36:37], 3, v[4:5]
	v_mov_b32_e32 v4, v6
	s_wait_alu 0xfffd
	v_add_co_ci_u32_e32 v35, vcc_lo, s5, v35, vcc_lo
	v_add_co_u32 v11, vcc_lo, s4, v11
	v_lshlrev_b64_e32 v[9:10], 3, v[9:10]
	s_wait_alu 0xfffd
	v_add_co_ci_u32_e32 v12, vcc_lo, s5, v12, vcc_lo
	v_add_co_u32 v36, vcc_lo, s4, v36
	v_lshlrev_b64_e32 v[4:5], 3, v[3:4]
	s_wait_alu 0xfffd
	v_add_co_ci_u32_e32 v37, vcc_lo, s5, v37, vcc_lo
	v_add_co_u32 v9, vcc_lo, s4, v9
	s_wait_alu 0xfffd
	v_add_co_ci_u32_e32 v10, vcc_lo, s5, v10, vcc_lo
	v_add_co_u32 v4, vcc_lo, s4, v4
	s_wait_alu 0xfffd
	v_add_co_ci_u32_e32 v5, vcc_lo, s5, v5, vcc_lo
	s_clause 0x4
	global_load_b64 v[34:35], v[34:35], off
	global_load_b64 v[11:12], v[11:12], off
	;; [unrolled: 1-line block ×5, first 2 shown]
	v_add_nc_u32_e32 v46, 4, v3
	v_mad_co_u64_u32 v[4:5], null, s2, v7, 0
	v_add_nc_u32_e32 v48, 8, v3
	v_mul_hi_u32 v7, 0xba2e8ba3, v45
	s_delay_alu instid0(VALU_DEP_4) | instskip(SKIP_4) | instid1(VALU_DEP_4)
	v_mul_hi_u32 v49, 0xba2e8ba3, v46
	v_lshrrev_b32_e32 v40, 3, v40
	v_mul_hi_u32 v50, 0xba2e8ba3, v47
	v_mul_hi_u32 v51, 0xba2e8ba3, v48
	v_add3_u32 v5, v5, v8, v22
	v_mul_lo_u32 v8, v40, 11
	v_lshrrev_b32_e32 v22, 3, v7
	v_lshrrev_b32_e32 v40, 3, v49
	s_delay_alu instid0(VALU_DEP_4)
	v_lshlrev_b64_e32 v[4:5], 3, v[4:5]
	v_lshrrev_b32_e32 v52, 3, v50
	v_lshrrev_b32_e32 v53, 3, v51
	v_mul_lo_u32 v7, v22, 11
	v_mul_lo_u32 v49, v40, 11
	v_sub_nc_u32_e32 v8, v3, v8
	v_add_co_u32 v4, vcc_lo, s10, v4
	s_wait_alu 0xfffd
	v_add_co_ci_u32_e32 v5, vcc_lo, s11, v5, vcc_lo
	v_mul_lo_u32 v50, v52, 11
	v_mul_lo_u32 v51, v53, 11
	v_add_co_u32 v1, vcc_lo, v4, v1
	s_wait_alu 0xfffd
	v_add_co_ci_u32_e32 v2, vcc_lo, v5, v2, vcc_lo
	v_sub_nc_u32_e32 v4, v45, v7
	v_sub_nc_u32_e32 v5, v46, v49
	v_lshlrev_b32_e32 v54, 3, v8
	v_sub_nc_u32_e32 v7, v47, v50
	v_sub_nc_u32_e32 v8, v48, v51
	s_delay_alu instid0(VALU_DEP_4) | instskip(SKIP_2) | instid1(VALU_DEP_4)
	v_mad_co_u64_u32 v[47:48], null, v22, 22, v[4:5]
	v_mad_co_u64_u32 v[49:50], null, v40, 22, v[5:6]
	v_mov_b32_e32 v48, v6
	v_mad_co_u64_u32 v[51:52], null, v52, 22, v[7:8]
	s_delay_alu instid0(VALU_DEP_4) | instskip(SKIP_3) | instid1(VALU_DEP_3)
	v_dual_mov_b32 v50, v6 :: v_dual_add_nc_u32 v5, 11, v47
	v_add_co_u32 v45, vcc_lo, v1, v54
	s_wait_alu 0xfffd
	v_add_co_ci_u32_e32 v46, vcc_lo, 0, v2, vcc_lo
	v_lshlrev_b64_e32 v[59:60], 3, v[5:6]
	v_add_nc_u32_e32 v5, 11, v49
	v_lshlrev_b64_e32 v[47:48], 3, v[47:48]
	s_delay_alu instid0(VALU_DEP_1) | instskip(SKIP_1) | instid1(VALU_DEP_2)
	v_add_co_u32 v47, vcc_lo, v1, v47
	s_wait_alu 0xfffd
	v_add_co_ci_u32_e32 v48, vcc_lo, v2, v48, vcc_lo
	s_wait_loadcnt 0x1
	v_mad_co_u64_u32 v[7:8], null, v53, 22, v[8:9]
	v_mov_b32_e32 v52, v6
	v_lshlrev_b64_e32 v[53:54], 3, v[49:50]
	v_mov_b32_e32 v8, v6
	s_delay_alu instid0(VALU_DEP_3) | instskip(NEXT) | instid1(VALU_DEP_2)
	v_lshlrev_b64_e32 v[55:56], 3, v[51:52]
	v_lshlrev_b64_e32 v[57:58], 3, v[7:8]
	s_delay_alu instid0(VALU_DEP_4) | instskip(SKIP_2) | instid1(VALU_DEP_4)
	v_add_co_u32 v49, vcc_lo, v1, v53
	s_wait_alu 0xfffd
	v_add_co_ci_u32_e32 v50, vcc_lo, v2, v54, vcc_lo
	v_add_co_u32 v52, vcc_lo, v1, v55
	s_wait_alu 0xfffd
	v_add_co_ci_u32_e32 v53, vcc_lo, v2, v56, vcc_lo
	v_add_co_u32 v54, vcc_lo, v1, v57
	v_lshlrev_b64_e32 v[56:57], 3, v[5:6]
	v_add_nc_u32_e32 v5, 11, v51
	s_wait_dscnt 0x4
	v_dual_mul_f32 v51, v24, v10 :: v_dual_mul_f32 v22, v33, v35
	s_wait_alu 0xfffd
	v_add_co_ci_u32_e32 v55, vcc_lo, v2, v58, vcc_lo
	v_add_co_u32 v58, vcc_lo, v1, v59
	s_delay_alu instid0(VALU_DEP_3)
	v_fmac_f32_e32 v51, v16, v9
	v_fmac_f32_e32 v22, v44, v34
	v_mul_f32_e32 v4, v44, v35
	v_mul_f32_e32 v44, v16, v10
	s_wait_loadcnt 0x0
	v_mul_f32_e32 v10, v15, v39
	v_dual_mul_f32 v39, v23, v39 :: v_dual_mul_f32 v40, v26, v12
	v_mul_f32_e32 v35, v18, v12
	v_fma_f32 v4, v33, v34, -v4
	s_wait_alu 0xfffd
	v_add_co_ci_u32_e32 v59, vcc_lo, v2, v60, vcc_lo
	v_dual_fmac_f32 v39, v15, v38 :: v_dual_fmac_f32 v40, v18, v11
	v_mul_f32_e32 v12, v17, v37
	v_mul_f32_e32 v37, v25, v37
	v_lshlrev_b64_e32 v[60:61], 3, v[5:6]
	v_add_nc_u32_e32 v5, 11, v7
	v_sub_f32_e32 v33, v43, v22
	v_add_co_u32 v7, vcc_lo, v1, v56
	v_fmac_f32_e32 v37, v17, v36
	v_fma_f32 v17, v24, v9, -v44
	s_wait_alu 0xfffd
	v_add_co_ci_u32_e32 v8, vcc_lo, v2, v57, vcc_lo
	v_lshlrev_b64_e32 v[56:57], 3, v[5:6]
	v_sub_f32_e32 v15, v0, v37
	v_fma_f32 v22, v23, v38, -v10
	s_wait_dscnt 0x0
	v_sub_f32_e32 v34, v32, v4
	v_fma_f32 v4, v26, v11, -v35
	v_sub_f32_e32 v11, v42, v40
	v_fma_f32 v18, v25, v36, -v12
	v_sub_f32_e32 v23, v29, v22
	s_delay_alu instid0(VALU_DEP_4)
	v_dual_sub_f32 v12, v31, v4 :: v_dual_add_nc_u32 v5, 10, v3
	v_sub_f32_e32 v22, v27, v39
	v_add_co_u32 v60, vcc_lo, v1, v60
	v_sub_f32_e32 v16, v28, v18
	v_dual_sub_f32 v18, v30, v17 :: v_dual_sub_f32 v17, v41, v51
	s_wait_alu 0xfffd
	v_add_co_ci_u32_e32 v61, vcc_lo, v2, v61, vcc_lo
	v_cmp_gt_u32_e32 vcc_lo, 11, v5
	v_fma_f32 v10, v32, 2.0, -v34
	v_fma_f32 v25, v31, 2.0, -v12
	;; [unrolled: 1-line block ×6, first 2 shown]
	v_add_co_u32 v56, s0, v1, v56
	v_fma_f32 v29, v28, 2.0, -v16
	v_fma_f32 v28, v0, 2.0, -v15
	s_wait_alu 0xf1fe
	v_add_co_ci_u32_e64 v57, s0, v2, v57, s0
	v_fma_f32 v9, v43, 2.0, -v33
	v_fma_f32 v24, v42, 2.0, -v11
	s_clause 0x9
	global_store_b64 v[45:46], v[31:32], off
	global_store_b64 v[45:46], v[22:23], off offset:88
	global_store_b64 v[47:48], v[26:27], off
	global_store_b64 v[58:59], v[17:18], off
	;; [unrolled: 1-line block ×8, first 2 shown]
	s_and_b32 exec_lo, exec_lo, vcc_lo
	s_cbranch_execz .LBB0_20
; %bb.19:
	v_lshlrev_b32_e32 v0, 3, v21
	global_load_b64 v[7:8], v0, s[4:5]
	s_wait_loadcnt 0x0
	v_mul_f32_e32 v0, v20, v8
	v_mul_f32_e32 v8, v14, v8
	s_delay_alu instid0(VALU_DEP_2) | instskip(SKIP_1) | instid1(VALU_DEP_3)
	v_fmac_f32_e32 v0, v14, v7
	v_mov_b32_e32 v4, v6
	v_fma_f32 v8, v20, v7, -v8
	v_lshlrev_b64_e32 v[5:6], 3, v[5:6]
	s_delay_alu instid0(VALU_DEP_4) | instskip(NEXT) | instid1(VALU_DEP_4)
	v_sub_f32_e32 v7, v13, v0
	v_lshlrev_b64_e32 v[3:4], 3, v[3:4]
	s_delay_alu instid0(VALU_DEP_4) | instskip(NEXT) | instid1(VALU_DEP_4)
	v_sub_f32_e32 v8, v19, v8
	v_add_co_u32 v5, vcc_lo, v1, v5
	s_wait_alu 0xfffd
	v_add_co_ci_u32_e32 v6, vcc_lo, v2, v6, vcc_lo
	s_delay_alu instid0(VALU_DEP_4)
	v_add_co_u32 v0, vcc_lo, v1, v3
	v_fma_f32 v9, v13, 2.0, -v7
	v_fma_f32 v10, v19, 2.0, -v8
	s_wait_alu 0xfffd
	v_add_co_ci_u32_e32 v1, vcc_lo, v2, v4, vcc_lo
	s_clause 0x1
	global_store_b64 v[5:6], v[9:10], off
	global_store_b64 v[0:1], v[7:8], off offset:168
.LBB0_20:
	s_nop 0
	s_sendmsg sendmsg(MSG_DEALLOC_VGPRS)
	s_endpgm
	.section	.rodata,"a",@progbits
	.p2align	6, 0x0
	.amdhsa_kernel fft_rtc_back_len22_factors_11_2_wgs_64_tpt_2_halfLds_sp_op_CI_CI_unitstride_sbrr_dirReg
		.amdhsa_group_segment_fixed_size 0
		.amdhsa_private_segment_fixed_size 0
		.amdhsa_kernarg_size 104
		.amdhsa_user_sgpr_count 2
		.amdhsa_user_sgpr_dispatch_ptr 0
		.amdhsa_user_sgpr_queue_ptr 0
		.amdhsa_user_sgpr_kernarg_segment_ptr 1
		.amdhsa_user_sgpr_dispatch_id 0
		.amdhsa_user_sgpr_private_segment_size 0
		.amdhsa_wavefront_size32 1
		.amdhsa_uses_dynamic_stack 0
		.amdhsa_enable_private_segment 0
		.amdhsa_system_sgpr_workgroup_id_x 1
		.amdhsa_system_sgpr_workgroup_id_y 0
		.amdhsa_system_sgpr_workgroup_id_z 0
		.amdhsa_system_sgpr_workgroup_info 0
		.amdhsa_system_vgpr_workitem_id 0
		.amdhsa_next_free_vgpr 62
		.amdhsa_next_free_sgpr 39
		.amdhsa_reserve_vcc 1
		.amdhsa_float_round_mode_32 0
		.amdhsa_float_round_mode_16_64 0
		.amdhsa_float_denorm_mode_32 3
		.amdhsa_float_denorm_mode_16_64 3
		.amdhsa_fp16_overflow 0
		.amdhsa_workgroup_processor_mode 1
		.amdhsa_memory_ordered 1
		.amdhsa_forward_progress 0
		.amdhsa_round_robin_scheduling 0
		.amdhsa_exception_fp_ieee_invalid_op 0
		.amdhsa_exception_fp_denorm_src 0
		.amdhsa_exception_fp_ieee_div_zero 0
		.amdhsa_exception_fp_ieee_overflow 0
		.amdhsa_exception_fp_ieee_underflow 0
		.amdhsa_exception_fp_ieee_inexact 0
		.amdhsa_exception_int_div_zero 0
	.end_amdhsa_kernel
	.text
.Lfunc_end0:
	.size	fft_rtc_back_len22_factors_11_2_wgs_64_tpt_2_halfLds_sp_op_CI_CI_unitstride_sbrr_dirReg, .Lfunc_end0-fft_rtc_back_len22_factors_11_2_wgs_64_tpt_2_halfLds_sp_op_CI_CI_unitstride_sbrr_dirReg
                                        ; -- End function
	.section	.AMDGPU.csdata,"",@progbits
; Kernel info:
; codeLenInByte = 5496
; NumSgprs: 41
; NumVgprs: 62
; ScratchSize: 0
; MemoryBound: 0
; FloatMode: 240
; IeeeMode: 1
; LDSByteSize: 0 bytes/workgroup (compile time only)
; SGPRBlocks: 5
; VGPRBlocks: 7
; NumSGPRsForWavesPerEU: 41
; NumVGPRsForWavesPerEU: 62
; Occupancy: 16
; WaveLimiterHint : 1
; COMPUTE_PGM_RSRC2:SCRATCH_EN: 0
; COMPUTE_PGM_RSRC2:USER_SGPR: 2
; COMPUTE_PGM_RSRC2:TRAP_HANDLER: 0
; COMPUTE_PGM_RSRC2:TGID_X_EN: 1
; COMPUTE_PGM_RSRC2:TGID_Y_EN: 0
; COMPUTE_PGM_RSRC2:TGID_Z_EN: 0
; COMPUTE_PGM_RSRC2:TIDIG_COMP_CNT: 0
	.text
	.p2alignl 7, 3214868480
	.fill 96, 4, 3214868480
	.type	__hip_cuid_bb144deac1fed9fe,@object ; @__hip_cuid_bb144deac1fed9fe
	.section	.bss,"aw",@nobits
	.globl	__hip_cuid_bb144deac1fed9fe
__hip_cuid_bb144deac1fed9fe:
	.byte	0                               ; 0x0
	.size	__hip_cuid_bb144deac1fed9fe, 1

	.ident	"AMD clang version 19.0.0git (https://github.com/RadeonOpenCompute/llvm-project roc-6.4.0 25133 c7fe45cf4b819c5991fe208aaa96edf142730f1d)"
	.section	".note.GNU-stack","",@progbits
	.addrsig
	.addrsig_sym __hip_cuid_bb144deac1fed9fe
	.amdgpu_metadata
---
amdhsa.kernels:
  - .args:
      - .actual_access:  read_only
        .address_space:  global
        .offset:         0
        .size:           8
        .value_kind:     global_buffer
      - .offset:         8
        .size:           8
        .value_kind:     by_value
      - .actual_access:  read_only
        .address_space:  global
        .offset:         16
        .size:           8
        .value_kind:     global_buffer
      - .actual_access:  read_only
        .address_space:  global
        .offset:         24
        .size:           8
        .value_kind:     global_buffer
      - .actual_access:  read_only
        .address_space:  global
        .offset:         32
        .size:           8
        .value_kind:     global_buffer
      - .offset:         40
        .size:           8
        .value_kind:     by_value
      - .actual_access:  read_only
        .address_space:  global
        .offset:         48
        .size:           8
        .value_kind:     global_buffer
      - .actual_access:  read_only
        .address_space:  global
        .offset:         56
        .size:           8
        .value_kind:     global_buffer
      - .offset:         64
        .size:           4
        .value_kind:     by_value
      - .actual_access:  read_only
        .address_space:  global
        .offset:         72
        .size:           8
        .value_kind:     global_buffer
      - .actual_access:  read_only
        .address_space:  global
        .offset:         80
        .size:           8
        .value_kind:     global_buffer
      - .actual_access:  read_only
        .address_space:  global
        .offset:         88
        .size:           8
        .value_kind:     global_buffer
      - .actual_access:  write_only
        .address_space:  global
        .offset:         96
        .size:           8
        .value_kind:     global_buffer
    .group_segment_fixed_size: 0
    .kernarg_segment_align: 8
    .kernarg_segment_size: 104
    .language:       OpenCL C
    .language_version:
      - 2
      - 0
    .max_flat_workgroup_size: 64
    .name:           fft_rtc_back_len22_factors_11_2_wgs_64_tpt_2_halfLds_sp_op_CI_CI_unitstride_sbrr_dirReg
    .private_segment_fixed_size: 0
    .sgpr_count:     41
    .sgpr_spill_count: 0
    .symbol:         fft_rtc_back_len22_factors_11_2_wgs_64_tpt_2_halfLds_sp_op_CI_CI_unitstride_sbrr_dirReg.kd
    .uniform_work_group_size: 1
    .uses_dynamic_stack: false
    .vgpr_count:     62
    .vgpr_spill_count: 0
    .wavefront_size: 32
    .workgroup_processor_mode: 1
amdhsa.target:   amdgcn-amd-amdhsa--gfx1201
amdhsa.version:
  - 1
  - 2
...

	.end_amdgpu_metadata
